;; amdgpu-corpus repo=ROCm/rocFFT kind=compiled arch=gfx1201 opt=O3
	.text
	.amdgcn_target "amdgcn-amd-amdhsa--gfx1201"
	.amdhsa_code_object_version 6
	.protected	bluestein_single_fwd_len486_dim1_dp_op_CI_CI ; -- Begin function bluestein_single_fwd_len486_dim1_dp_op_CI_CI
	.globl	bluestein_single_fwd_len486_dim1_dp_op_CI_CI
	.p2align	8
	.type	bluestein_single_fwd_len486_dim1_dp_op_CI_CI,@function
bluestein_single_fwd_len486_dim1_dp_op_CI_CI: ; @bluestein_single_fwd_len486_dim1_dp_op_CI_CI
; %bb.0:
	s_load_b128 s[8:11], s[0:1], 0x28
	v_mul_u32_u24_e32 v1, 0x195, v0
	s_mov_b32 s2, exec_lo
	v_mov_b32_e32 v57, 0
	s_delay_alu instid0(VALU_DEP_2) | instskip(NEXT) | instid1(VALU_DEP_1)
	v_lshrrev_b32_e32 v1, 16, v1
	v_add_nc_u32_e32 v56, ttmp9, v1
	s_wait_kmcnt 0x0
	s_delay_alu instid0(VALU_DEP_1)
	v_cmpx_gt_u64_e64 s[8:9], v[56:57]
	s_cbranch_execz .LBB0_15
; %bb.1:
	s_clause 0x1
	s_load_b64 s[12:13], s[0:1], 0x0
	s_load_b64 s[8:9], s[0:1], 0x38
	v_mul_lo_u16 v1, 0xa2, v1
	s_delay_alu instid0(VALU_DEP_1) | instskip(NEXT) | instid1(VALU_DEP_1)
	v_sub_nc_u16 v0, v0, v1
	v_and_b32_e32 v57, 0xffff, v0
	v_cmp_gt_u16_e32 vcc_lo, 0x51, v0
	s_delay_alu instid0(VALU_DEP_2)
	v_lshlrev_b32_e32 v58, 4, v57
	s_and_saveexec_b32 s3, vcc_lo
	s_cbranch_execz .LBB0_3
; %bb.2:
	s_load_b64 s[4:5], s[0:1], 0x18
	s_wait_kmcnt 0x0
	s_load_b128 s[4:7], s[4:5], 0x0
	s_wait_kmcnt 0x0
	v_mad_co_u64_u32 v[0:1], null, s6, v56, 0
	v_mad_co_u64_u32 v[2:3], null, s4, v57, 0
	s_delay_alu instid0(VALU_DEP_1) | instskip(NEXT) | instid1(VALU_DEP_1)
	v_mad_co_u64_u32 v[4:5], null, s7, v56, v[1:2]
	v_mad_co_u64_u32 v[5:6], null, s5, v57, v[3:4]
	v_mov_b32_e32 v1, v4
	s_mul_u64 s[4:5], s[4:5], 0x510
	s_delay_alu instid0(VALU_DEP_1) | instskip(NEXT) | instid1(VALU_DEP_3)
	v_lshlrev_b64_e32 v[0:1], 4, v[0:1]
	v_mov_b32_e32 v3, v5
	s_delay_alu instid0(VALU_DEP_2) | instskip(NEXT) | instid1(VALU_DEP_2)
	v_add_co_u32 v0, s2, s10, v0
	v_lshlrev_b64_e32 v[2:3], 4, v[2:3]
	s_delay_alu instid0(VALU_DEP_4) | instskip(NEXT) | instid1(VALU_DEP_2)
	v_add_co_ci_u32_e64 v1, s2, s11, v1, s2
	v_add_co_u32 v16, s2, v0, v2
	s_wait_alu 0xf1ff
	s_delay_alu instid0(VALU_DEP_2)
	v_add_co_ci_u32_e64 v17, s2, v1, v3, s2
	s_clause 0x1
	global_load_b128 v[0:3], v58, s[12:13]
	global_load_b128 v[4:7], v58, s[12:13] offset:1296
	s_wait_alu 0xfffe
	v_add_co_u32 v20, s2, v16, s4
	s_wait_alu 0xf1ff
	v_add_co_ci_u32_e64 v21, s2, s5, v17, s2
	s_clause 0x1
	global_load_b128 v[8:11], v58, s[12:13] offset:2592
	global_load_b128 v[12:15], v58, s[12:13] offset:3888
	v_add_co_u32 v24, s2, v20, s4
	s_wait_alu 0xf1ff
	v_add_co_ci_u32_e64 v25, s2, s5, v21, s2
	s_clause 0x1
	global_load_b128 v[16:19], v[16:17], off
	global_load_b128 v[20:23], v[20:21], off
	v_add_co_u32 v28, s2, v24, s4
	s_wait_alu 0xf1ff
	v_add_co_ci_u32_e64 v29, s2, s5, v25, s2
	global_load_b128 v[24:27], v[24:25], off
	v_add_co_u32 v32, s2, v28, s4
	s_wait_alu 0xf1ff
	v_add_co_ci_u32_e64 v33, s2, s5, v29, s2
	s_delay_alu instid0(VALU_DEP_2) | instskip(SKIP_1) | instid1(VALU_DEP_2)
	v_add_co_u32 v44, s2, v32, s4
	s_wait_alu 0xf1ff
	v_add_co_ci_u32_e64 v45, s2, s5, v33, s2
	s_clause 0x1
	global_load_b128 v[28:31], v[28:29], off
	global_load_b128 v[32:35], v[32:33], off
	s_clause 0x1
	global_load_b128 v[36:39], v58, s[12:13] offset:5184
	global_load_b128 v[40:43], v58, s[12:13] offset:6480
	global_load_b128 v[44:47], v[44:45], off
	s_wait_loadcnt 0x7
	v_mul_f64_e32 v[48:49], v[18:19], v[2:3]
	v_mul_f64_e32 v[2:3], v[16:17], v[2:3]
	s_wait_loadcnt 0x6
	v_mul_f64_e32 v[50:51], v[22:23], v[6:7]
	v_mul_f64_e32 v[6:7], v[20:21], v[6:7]
	;; [unrolled: 3-line block ×6, first 2 shown]
	v_fma_f64 v[14:15], v[16:17], v[0:1], v[48:49]
	v_fma_f64 v[16:17], v[18:19], v[0:1], -v[2:3]
	v_fma_f64 v[0:1], v[20:21], v[4:5], v[50:51]
	v_fma_f64 v[2:3], v[22:23], v[4:5], -v[6:7]
	;; [unrolled: 2-line block ×6, first 2 shown]
	ds_store_b128 v58, v[14:17]
	ds_store_b128 v58, v[0:3] offset:1296
	ds_store_b128 v58, v[4:7] offset:2592
	;; [unrolled: 1-line block ×5, first 2 shown]
.LBB0_3:
	s_or_b32 exec_lo, exec_lo, s3
	s_clause 0x1
	s_load_b64 s[2:3], s[0:1], 0x20
	s_load_b64 s[4:5], s[0:1], 0x8
	global_wb scope:SCOPE_SE
	s_wait_dscnt 0x0
	s_wait_kmcnt 0x0
	s_barrier_signal -1
	s_barrier_wait -1
	global_inv scope:SCOPE_SE
                                        ; implicit-def: $vgpr0_vgpr1
                                        ; implicit-def: $vgpr4_vgpr5
                                        ; implicit-def: $vgpr8_vgpr9
                                        ; implicit-def: $vgpr12_vgpr13
                                        ; implicit-def: $vgpr16_vgpr17
                                        ; implicit-def: $vgpr20_vgpr21
	s_and_saveexec_b32 s0, vcc_lo
	s_cbranch_execz .LBB0_5
; %bb.4:
	ds_load_b128 v[0:3], v58
	ds_load_b128 v[4:7], v58 offset:1296
	ds_load_b128 v[8:11], v58 offset:2592
	;; [unrolled: 1-line block ×5, first 2 shown]
.LBB0_5:
	s_wait_alu 0xfffe
	s_or_b32 exec_lo, exec_lo, s0
	s_wait_dscnt 0x0
	v_add_f64_e32 v[24:25], v[14:15], v[22:23]
	v_add_f64_e32 v[26:27], v[12:13], v[20:21]
	v_add_f64_e64 v[28:29], v[14:15], -v[22:23]
	v_add_f64_e64 v[30:31], v[12:13], -v[20:21]
	s_mov_b32 s6, 0xe8584caa
	s_mov_b32 s7, 0x3febb67a
	;; [unrolled: 1-line block ×3, first 2 shown]
	s_wait_alu 0xfffe
	s_mov_b32 s10, s6
	v_add_f64_e32 v[32:33], v[8:9], v[16:17]
	v_add_f64_e32 v[34:35], v[10:11], v[18:19]
	v_mul_lo_u16 v59, v57, 6
	global_wb scope:SCOPE_SE
	s_barrier_signal -1
	s_barrier_wait -1
	global_inv scope:SCOPE_SE
	v_fma_f64 v[24:25], v[24:25], -0.5, v[6:7]
	v_fma_f64 v[26:27], v[26:27], -0.5, v[4:5]
	v_add_f64_e32 v[4:5], v[4:5], v[12:13]
	v_add_f64_e32 v[6:7], v[6:7], v[14:15]
	v_fma_f64 v[12:13], v[32:33], -0.5, v[0:1]
	v_fma_f64 v[14:15], v[34:35], -0.5, v[2:3]
	s_wait_alu 0xfffe
	v_fma_f64 v[36:37], v[30:31], s[10:11], v[24:25]
	v_fma_f64 v[38:39], v[28:29], s[10:11], v[26:27]
	v_fma_f64 v[26:27], v[28:29], s[6:7], v[26:27]
	v_fma_f64 v[24:25], v[30:31], s[6:7], v[24:25]
	v_add_f64_e32 v[28:29], v[0:1], v[8:9]
	v_add_f64_e64 v[30:31], v[10:11], -v[18:19]
	v_add_f64_e32 v[10:11], v[2:3], v[10:11]
	v_add_f64_e64 v[8:9], v[8:9], -v[16:17]
	v_add_f64_e32 v[2:3], v[4:5], v[20:21]
	v_add_f64_e32 v[20:21], v[6:7], v[22:23]
	v_mul_f64_e32 v[32:33], s[6:7], v[36:37]
	v_mul_f64_e32 v[34:35], -0.5, v[38:39]
	v_mul_f64_e32 v[40:41], s[10:11], v[26:27]
	v_mul_f64_e32 v[42:43], -0.5, v[24:25]
	v_add_f64_e32 v[0:1], v[28:29], v[16:17]
	v_fma_f64 v[4:5], v[30:31], s[6:7], v[12:13]
	v_add_f64_e32 v[28:29], v[10:11], v[18:19]
	v_fma_f64 v[6:7], v[30:31], s[10:11], v[12:13]
	v_fma_f64 v[22:23], v[8:9], s[10:11], v[14:15]
	;; [unrolled: 1-line block ×3, first 2 shown]
	v_fma_f64 v[16:17], v[26:27], 0.5, v[32:33]
	v_fma_f64 v[18:19], v[24:25], s[6:7], v[34:35]
	v_fma_f64 v[32:33], v[36:37], 0.5, v[40:41]
	v_fma_f64 v[34:35], v[38:39], s[10:11], v[42:43]
	v_add_f64_e64 v[8:9], v[0:1], -v[2:3]
	v_add_f64_e64 v[10:11], v[28:29], -v[20:21]
	v_add_f64_e64 v[12:13], v[4:5], -v[16:17]
	v_add_f64_e64 v[24:25], v[6:7], -v[18:19]
	v_add_f64_e64 v[14:15], v[22:23], -v[32:33]
	v_add_f64_e64 v[26:27], v[30:31], -v[34:35]
	s_and_saveexec_b32 s0, vcc_lo
	s_cbranch_execz .LBB0_7
; %bb.6:
	v_add_f64_e32 v[30:31], v[30:31], v[34:35]
	v_add_f64_e32 v[22:23], v[22:23], v[32:33]
	;; [unrolled: 1-line block ×6, first 2 shown]
	v_and_b32_e32 v0, 0xffff, v59
	s_delay_alu instid0(VALU_DEP_1)
	v_lshlrev_b32_e32 v0, 4, v0
	ds_store_b128 v0, v[32:35]
	ds_store_b128 v0, v[20:23] offset:16
	ds_store_b128 v0, v[28:31] offset:32
	;; [unrolled: 1-line block ×5, first 2 shown]
.LBB0_7:
	s_wait_alu 0xfffe
	s_or_b32 exec_lo, exec_lo, s0
	v_and_b32_e32 v50, 0xff, v57
	s_load_b128 s[0:3], s[2:3], 0x0
	global_wb scope:SCOPE_SE
	s_wait_dscnt 0x0
	s_wait_kmcnt 0x0
	s_barrier_signal -1
	s_barrier_wait -1
	v_mul_lo_u16 v0, 0xab, v50
	global_inv scope:SCOPE_SE
	v_lshrrev_b16 v42, 10, v0
	s_delay_alu instid0(VALU_DEP_1) | instskip(NEXT) | instid1(VALU_DEP_1)
	v_mul_lo_u16 v0, v42, 6
	v_sub_nc_u16 v0, v57, v0
	s_delay_alu instid0(VALU_DEP_1) | instskip(NEXT) | instid1(VALU_DEP_1)
	v_and_b32_e32 v43, 0xff, v0
	v_lshlrev_b32_e32 v0, 5, v43
	s_clause 0x1
	global_load_b128 v[4:7], v0, s[4:5]
	global_load_b128 v[0:3], v0, s[4:5] offset:16
	ds_load_b128 v[16:19], v58 offset:2592
	ds_load_b128 v[20:23], v58 offset:5184
	s_wait_loadcnt_dscnt 0x101
	v_mul_f64_e32 v[28:29], v[18:19], v[6:7]
	s_wait_loadcnt_dscnt 0x0
	v_mul_f64_e32 v[30:31], v[22:23], v[2:3]
	v_mul_f64_e32 v[32:33], v[16:17], v[6:7]
	;; [unrolled: 1-line block ×3, first 2 shown]
	s_delay_alu instid0(VALU_DEP_4) | instskip(NEXT) | instid1(VALU_DEP_4)
	v_fma_f64 v[28:29], v[16:17], v[4:5], -v[28:29]
	v_fma_f64 v[20:21], v[20:21], v[0:1], -v[30:31]
	s_delay_alu instid0(VALU_DEP_4) | instskip(NEXT) | instid1(VALU_DEP_4)
	v_fma_f64 v[30:31], v[18:19], v[4:5], v[32:33]
	v_fma_f64 v[22:23], v[22:23], v[0:1], v[34:35]
	ds_load_b128 v[16:19], v58
	global_wb scope:SCOPE_SE
	s_wait_dscnt 0x0
	s_barrier_signal -1
	s_barrier_wait -1
	global_inv scope:SCOPE_SE
	v_add_f64_e32 v[36:37], v[16:17], v[28:29]
	v_add_f64_e32 v[32:33], v[28:29], v[20:21]
	v_add_f64_e64 v[40:41], v[28:29], -v[20:21]
	v_add_f64_e32 v[34:35], v[30:31], v[22:23]
	v_add_f64_e64 v[38:39], v[30:31], -v[22:23]
	v_add_f64_e32 v[30:31], v[18:19], v[30:31]
	v_fma_f64 v[32:33], v[32:33], -0.5, v[16:17]
	v_add_f64_e32 v[16:17], v[36:37], v[20:21]
	v_fma_f64 v[34:35], v[34:35], -0.5, v[18:19]
	s_delay_alu instid0(VALU_DEP_4) | instskip(NEXT) | instid1(VALU_DEP_4)
	v_add_f64_e32 v[18:19], v[30:31], v[22:23]
	v_fma_f64 v[20:21], v[38:39], s[6:7], v[32:33]
	v_fma_f64 v[28:29], v[38:39], s[10:11], v[32:33]
	s_delay_alu instid0(VALU_DEP_4) | instskip(SKIP_3) | instid1(VALU_DEP_2)
	v_fma_f64 v[22:23], v[40:41], s[10:11], v[34:35]
	v_fma_f64 v[30:31], v[40:41], s[6:7], v[34:35]
	v_mul_lo_u16 v32, v50, 57
	v_and_b32_e32 v33, 0xffff, v42
	v_lshrrev_b16 v51, 10, v32
	s_delay_alu instid0(VALU_DEP_2) | instskip(NEXT) | instid1(VALU_DEP_2)
	v_mul_u32_u24_e32 v33, 18, v33
	v_mul_lo_u16 v32, v51, 18
	s_delay_alu instid0(VALU_DEP_2)
	v_add_lshl_u32 v60, v33, v43, 4
	ds_store_b128 v60, v[16:19]
	ds_store_b128 v60, v[20:23] offset:96
	ds_store_b128 v60, v[28:31] offset:192
	v_sub_nc_u16 v32, v57, v32
	global_wb scope:SCOPE_SE
	s_wait_dscnt 0x0
	s_barrier_signal -1
	s_barrier_wait -1
	global_inv scope:SCOPE_SE
	v_and_b32_e32 v52, 0xff, v32
	s_delay_alu instid0(VALU_DEP_1)
	v_lshlrev_b32_e32 v32, 5, v52
	s_clause 0x1
	global_load_b128 v[20:23], v32, s[4:5] offset:192
	global_load_b128 v[16:19], v32, s[4:5] offset:208
	ds_load_b128 v[28:31], v58 offset:2592
	ds_load_b128 v[32:35], v58 offset:5184
	s_wait_loadcnt_dscnt 0x101
	v_mul_f64_e32 v[36:37], v[30:31], v[22:23]
	s_wait_loadcnt_dscnt 0x0
	v_mul_f64_e32 v[38:39], v[34:35], v[18:19]
	v_mul_f64_e32 v[40:41], v[28:29], v[22:23]
	;; [unrolled: 1-line block ×3, first 2 shown]
	s_delay_alu instid0(VALU_DEP_4) | instskip(NEXT) | instid1(VALU_DEP_4)
	v_fma_f64 v[36:37], v[28:29], v[20:21], -v[36:37]
	v_fma_f64 v[32:33], v[32:33], v[16:17], -v[38:39]
	s_delay_alu instid0(VALU_DEP_4) | instskip(NEXT) | instid1(VALU_DEP_4)
	v_fma_f64 v[38:39], v[30:31], v[20:21], v[40:41]
	v_fma_f64 v[34:35], v[34:35], v[16:17], v[42:43]
	ds_load_b128 v[28:31], v58
	global_wb scope:SCOPE_SE
	s_wait_dscnt 0x0
	s_barrier_signal -1
	s_barrier_wait -1
	global_inv scope:SCOPE_SE
	v_add_f64_e32 v[44:45], v[28:29], v[36:37]
	v_add_f64_e32 v[40:41], v[36:37], v[32:33]
	v_add_f64_e64 v[48:49], v[36:37], -v[32:33]
	v_add_f64_e32 v[42:43], v[38:39], v[34:35]
	v_add_f64_e64 v[46:47], v[38:39], -v[34:35]
	v_add_f64_e32 v[38:39], v[30:31], v[38:39]
	v_fma_f64 v[40:41], v[40:41], -0.5, v[28:29]
	v_add_f64_e32 v[28:29], v[44:45], v[32:33]
	v_fma_f64 v[42:43], v[42:43], -0.5, v[30:31]
	s_delay_alu instid0(VALU_DEP_4) | instskip(NEXT) | instid1(VALU_DEP_4)
	v_add_f64_e32 v[30:31], v[38:39], v[34:35]
	v_fma_f64 v[32:33], v[46:47], s[6:7], v[40:41]
	v_fma_f64 v[36:37], v[46:47], s[10:11], v[40:41]
	s_delay_alu instid0(VALU_DEP_4) | instskip(SKIP_3) | instid1(VALU_DEP_2)
	v_fma_f64 v[34:35], v[48:49], s[10:11], v[42:43]
	v_fma_f64 v[38:39], v[48:49], s[6:7], v[42:43]
	v_mul_lo_u16 v40, v50, 19
	v_and_b32_e32 v41, 0xffff, v51
	v_lshrrev_b16 v64, 10, v40
	s_delay_alu instid0(VALU_DEP_2) | instskip(NEXT) | instid1(VALU_DEP_2)
	v_mul_u32_u24_e32 v41, 54, v41
	v_mul_lo_u16 v40, v64, 54
	s_delay_alu instid0(VALU_DEP_2)
	v_add_lshl_u32 v61, v41, v52, 4
	ds_store_b128 v61, v[28:31]
	ds_store_b128 v61, v[32:35] offset:288
	ds_store_b128 v61, v[36:39] offset:576
	v_sub_nc_u16 v40, v57, v40
	global_wb scope:SCOPE_SE
	s_wait_dscnt 0x0
	s_barrier_signal -1
	s_barrier_wait -1
	global_inv scope:SCOPE_SE
	v_and_b32_e32 v65, 0xff, v40
	s_delay_alu instid0(VALU_DEP_1)
	v_lshlrev_b32_e32 v40, 5, v65
	s_clause 0x1
	global_load_b128 v[32:35], v40, s[4:5] offset:768
	global_load_b128 v[28:31], v40, s[4:5] offset:784
	ds_load_b128 v[36:39], v58 offset:2592
	ds_load_b128 v[40:43], v58 offset:5184
	s_wait_loadcnt_dscnt 0x101
	v_mul_f64_e32 v[44:45], v[38:39], v[34:35]
	s_wait_loadcnt_dscnt 0x0
	v_mul_f64_e32 v[46:47], v[42:43], v[30:31]
	v_mul_f64_e32 v[48:49], v[36:37], v[34:35]
	;; [unrolled: 1-line block ×3, first 2 shown]
	s_delay_alu instid0(VALU_DEP_4) | instskip(NEXT) | instid1(VALU_DEP_4)
	v_fma_f64 v[44:45], v[36:37], v[32:33], -v[44:45]
	v_fma_f64 v[40:41], v[40:41], v[28:29], -v[46:47]
	s_delay_alu instid0(VALU_DEP_4) | instskip(NEXT) | instid1(VALU_DEP_4)
	v_fma_f64 v[46:47], v[38:39], v[32:33], v[48:49]
	v_fma_f64 v[42:43], v[42:43], v[28:29], v[50:51]
	ds_load_b128 v[36:39], v58
	global_wb scope:SCOPE_SE
	s_wait_dscnt 0x0
	s_barrier_signal -1
	s_barrier_wait -1
	global_inv scope:SCOPE_SE
	v_add_f64_e32 v[52:53], v[36:37], v[44:45]
	v_add_f64_e32 v[48:49], v[44:45], v[40:41]
	v_add_f64_e64 v[62:63], v[44:45], -v[40:41]
	v_add_f64_e32 v[50:51], v[46:47], v[42:43]
	v_add_f64_e64 v[54:55], v[46:47], -v[42:43]
	v_add_f64_e32 v[46:47], v[38:39], v[46:47]
	v_fma_f64 v[48:49], v[48:49], -0.5, v[36:37]
	v_add_f64_e32 v[36:37], v[52:53], v[40:41]
	v_fma_f64 v[50:51], v[50:51], -0.5, v[38:39]
	s_delay_alu instid0(VALU_DEP_4) | instskip(NEXT) | instid1(VALU_DEP_4)
	v_add_f64_e32 v[38:39], v[46:47], v[42:43]
	v_fma_f64 v[40:41], v[54:55], s[6:7], v[48:49]
	v_fma_f64 v[44:45], v[54:55], s[10:11], v[48:49]
	s_delay_alu instid0(VALU_DEP_4) | instskip(SKIP_3) | instid1(VALU_DEP_2)
	v_fma_f64 v[42:43], v[62:63], s[10:11], v[50:51]
	v_fma_f64 v[46:47], v[62:63], s[6:7], v[50:51]
	v_and_b32_e32 v48, 0xffff, v64
	v_lshlrev_b32_e32 v49, 5, v57
	v_mul_u32_u24_e32 v48, 0xa2, v48
	s_delay_alu instid0(VALU_DEP_1)
	v_add_lshl_u32 v62, v48, v65, 4
	ds_store_b128 v62, v[36:39]
	ds_store_b128 v62, v[40:43] offset:864
	ds_store_b128 v62, v[44:47] offset:1728
	global_wb scope:SCOPE_SE
	s_wait_dscnt 0x0
	s_barrier_signal -1
	s_barrier_wait -1
	global_inv scope:SCOPE_SE
	s_clause 0x1
	global_load_b128 v[40:43], v49, s[4:5] offset:2496
	global_load_b128 v[36:39], v49, s[4:5] offset:2512
	ds_load_b128 v[44:47], v58 offset:2592
	ds_load_b128 v[48:51], v58 offset:5184
	s_wait_loadcnt_dscnt 0x101
	v_mul_f64_e32 v[52:53], v[46:47], v[42:43]
	s_wait_loadcnt_dscnt 0x0
	v_mul_f64_e32 v[54:55], v[50:51], v[38:39]
	v_mul_f64_e32 v[63:64], v[44:45], v[42:43]
	;; [unrolled: 1-line block ×3, first 2 shown]
	s_delay_alu instid0(VALU_DEP_4) | instskip(NEXT) | instid1(VALU_DEP_4)
	v_fma_f64 v[52:53], v[44:45], v[40:41], -v[52:53]
	v_fma_f64 v[48:49], v[48:49], v[36:37], -v[54:55]
	s_delay_alu instid0(VALU_DEP_4) | instskip(NEXT) | instid1(VALU_DEP_4)
	v_fma_f64 v[54:55], v[46:47], v[40:41], v[63:64]
	v_fma_f64 v[50:51], v[50:51], v[36:37], v[65:66]
	ds_load_b128 v[44:47], v58
	s_wait_dscnt 0x0
	v_add_f64_e32 v[67:68], v[44:45], v[52:53]
	v_add_f64_e32 v[63:64], v[52:53], v[48:49]
	v_add_f64_e64 v[71:72], v[52:53], -v[48:49]
	v_add_f64_e32 v[65:66], v[54:55], v[50:51]
	v_add_f64_e64 v[69:70], v[54:55], -v[50:51]
	v_add_f64_e32 v[54:55], v[46:47], v[54:55]
	v_fma_f64 v[63:64], v[63:64], -0.5, v[44:45]
	v_add_f64_e32 v[44:45], v[67:68], v[48:49]
	v_fma_f64 v[65:66], v[65:66], -0.5, v[46:47]
	s_delay_alu instid0(VALU_DEP_4) | instskip(NEXT) | instid1(VALU_DEP_4)
	v_add_f64_e32 v[46:47], v[54:55], v[50:51]
	v_fma_f64 v[48:49], v[69:70], s[6:7], v[63:64]
	v_fma_f64 v[52:53], v[69:70], s[10:11], v[63:64]
	s_delay_alu instid0(VALU_DEP_4)
	v_fma_f64 v[50:51], v[71:72], s[10:11], v[65:66]
	v_fma_f64 v[54:55], v[71:72], s[6:7], v[65:66]
	ds_store_b128 v58, v[44:47]
	ds_store_b128 v58, v[48:51] offset:2592
	ds_store_b128 v58, v[52:55] offset:5184
	global_wb scope:SCOPE_SE
	s_wait_dscnt 0x0
	s_barrier_signal -1
	s_barrier_wait -1
	global_inv scope:SCOPE_SE
	s_and_saveexec_b32 s6, vcc_lo
	s_cbranch_execz .LBB0_9
; %bb.8:
	s_add_nc_u64 s[4:5], s[12:13], 0x1e60
	s_clause 0x5
	global_load_b128 v[63:66], v58, s[12:13] offset:7776
	global_load_b128 v[67:70], v58, s[4:5] offset:1296
	;; [unrolled: 1-line block ×6, first 2 shown]
	ds_load_b128 v[87:90], v58
	ds_load_b128 v[91:94], v58 offset:1296
	ds_load_b128 v[95:98], v58 offset:2592
	;; [unrolled: 1-line block ×5, first 2 shown]
	s_wait_loadcnt_dscnt 0x505
	v_mul_f64_e32 v[111:112], v[89:90], v[65:66]
	v_mul_f64_e32 v[65:66], v[87:88], v[65:66]
	s_wait_loadcnt_dscnt 0x404
	v_mul_f64_e32 v[113:114], v[93:94], v[69:70]
	v_mul_f64_e32 v[69:70], v[91:92], v[69:70]
	;; [unrolled: 3-line block ×6, first 2 shown]
	v_fma_f64 v[85:86], v[87:88], v[63:64], -v[111:112]
	v_fma_f64 v[87:88], v[89:90], v[63:64], v[65:66]
	v_fma_f64 v[63:64], v[91:92], v[67:68], -v[113:114]
	v_fma_f64 v[65:66], v[93:94], v[67:68], v[69:70]
	;; [unrolled: 2-line block ×6, first 2 shown]
	ds_store_b128 v58, v[85:88]
	ds_store_b128 v58, v[63:66] offset:1296
	ds_store_b128 v58, v[67:70] offset:2592
	ds_store_b128 v58, v[71:74] offset:3888
	ds_store_b128 v58, v[75:78] offset:5184
	ds_store_b128 v58, v[79:82] offset:6480
.LBB0_9:
	s_wait_alu 0xfffe
	s_or_b32 exec_lo, exec_lo, s6
	global_wb scope:SCOPE_SE
	s_wait_dscnt 0x0
	s_barrier_signal -1
	s_barrier_wait -1
	global_inv scope:SCOPE_SE
	s_and_saveexec_b32 s4, vcc_lo
	s_cbranch_execz .LBB0_11
; %bb.10:
	ds_load_b128 v[44:47], v58
	ds_load_b128 v[48:51], v58 offset:1296
	ds_load_b128 v[52:55], v58 offset:2592
	;; [unrolled: 1-line block ×5, first 2 shown]
.LBB0_11:
	s_wait_alu 0xfffe
	s_or_b32 exec_lo, exec_lo, s4
	global_wb scope:SCOPE_SE
	s_wait_dscnt 0x0
	s_barrier_signal -1
	s_barrier_wait -1
	global_inv scope:SCOPE_SE
	s_and_saveexec_b32 s4, vcc_lo
	s_cbranch_execz .LBB0_13
; %bb.12:
	v_add_f64_e32 v[63:64], v[10:11], v[26:27]
	v_add_f64_e32 v[65:66], v[8:9], v[24:25]
	v_add_f64_e64 v[67:68], v[8:9], -v[24:25]
	s_mov_b32 s6, 0xe8584caa
	s_mov_b32 s7, 0xbfebb67a
	;; [unrolled: 1-line block ×3, first 2 shown]
	s_wait_alu 0xfffe
	s_mov_b32 s10, s6
	v_add_f64_e32 v[69:70], v[54:55], v[14:15]
	v_add_f64_e64 v[71:72], v[10:11], -v[26:27]
	v_add_f64_e32 v[73:74], v[52:53], v[12:13]
	v_add_f64_e32 v[77:78], v[46:47], v[54:55]
	;; [unrolled: 1-line block ×4, first 2 shown]
	v_and_b32_e32 v59, 0xffff, v59
	s_delay_alu instid0(VALU_DEP_1)
	v_lshlrev_b32_e32 v59, 4, v59
	v_fma_f64 v[63:64], v[63:64], -0.5, v[50:51]
	v_fma_f64 v[65:66], v[65:66], -0.5, v[48:49]
	v_add_f64_e64 v[50:51], v[54:55], -v[14:15]
	v_fma_f64 v[46:47], v[69:70], -0.5, v[46:47]
	v_add_f64_e32 v[14:15], v[77:78], v[14:15]
	v_add_f64_e32 v[26:27], v[10:11], v[26:27]
	;; [unrolled: 1-line block ×3, first 2 shown]
	v_fma_f64 v[75:76], v[67:68], s[6:7], v[63:64]
	s_wait_alu 0xfffe
	v_fma_f64 v[63:64], v[67:68], s[10:11], v[63:64]
	v_add_f64_e64 v[67:68], v[52:53], -v[12:13]
	v_add_f64_e32 v[52:53], v[44:45], v[52:53]
	v_fma_f64 v[44:45], v[73:74], -0.5, v[44:45]
	v_fma_f64 v[48:49], v[71:72], s[10:11], v[65:66]
	v_fma_f64 v[65:66], v[71:72], s[6:7], v[65:66]
	v_add_f64_e64 v[10:11], v[14:15], -v[26:27]
	v_add_f64_e32 v[14:15], v[14:15], v[26:27]
	v_mul_f64_e32 v[54:55], -0.5, v[75:76]
	v_mul_f64_e32 v[69:70], 0.5, v[63:64]
	v_mul_f64_e32 v[63:64], s[6:7], v[63:64]
	v_mul_f64_e32 v[71:72], s[6:7], v[75:76]
	v_add_f64_e32 v[12:13], v[52:53], v[12:13]
	v_fma_f64 v[52:53], v[67:68], s[6:7], v[46:47]
	v_fma_f64 v[67:68], v[67:68], s[10:11], v[46:47]
	;; [unrolled: 1-line block ×6, first 2 shown]
	v_fma_f64 v[63:64], v[65:66], 0.5, v[63:64]
	v_fma_f64 v[65:66], v[48:49], -0.5, v[71:72]
	v_add_f64_e64 v[8:9], v[12:13], -v[24:25]
	v_add_f64_e32 v[12:13], v[12:13], v[24:25]
	v_add_f64_e64 v[26:27], v[52:53], -v[46:47]
	v_add_f64_e32 v[50:51], v[67:68], v[54:55]
	v_add_f64_e32 v[48:49], v[75:76], v[63:64]
	;; [unrolled: 1-line block ×4, first 2 shown]
	v_add_f64_e64 v[54:55], v[67:68], -v[54:55]
	v_add_f64_e64 v[52:53], v[75:76], -v[63:64]
	;; [unrolled: 1-line block ×3, first 2 shown]
	ds_store_b128 v59, v[12:15]
	ds_store_b128 v59, v[48:51] offset:16
	ds_store_b128 v59, v[44:47] offset:32
	;; [unrolled: 1-line block ×5, first 2 shown]
.LBB0_13:
	s_wait_alu 0xfffe
	s_or_b32 exec_lo, exec_lo, s4
	global_wb scope:SCOPE_SE
	s_wait_dscnt 0x0
	s_barrier_signal -1
	s_barrier_wait -1
	global_inv scope:SCOPE_SE
	ds_load_b128 v[8:11], v58 offset:2592
	ds_load_b128 v[12:15], v58 offset:5184
	s_mov_b32 s4, 0xe8584caa
	s_mov_b32 s5, 0xbfebb67a
	;; [unrolled: 1-line block ×3, first 2 shown]
	s_wait_alu 0xfffe
	s_mov_b32 s6, s4
	s_wait_dscnt 0x1
	v_mul_f64_e32 v[24:25], v[6:7], v[10:11]
	s_wait_dscnt 0x0
	v_mul_f64_e32 v[26:27], v[2:3], v[14:15]
	v_mul_f64_e32 v[6:7], v[6:7], v[8:9]
	v_mul_f64_e32 v[2:3], v[2:3], v[12:13]
	s_delay_alu instid0(VALU_DEP_4) | instskip(NEXT) | instid1(VALU_DEP_4)
	v_fma_f64 v[8:9], v[4:5], v[8:9], v[24:25]
	v_fma_f64 v[12:13], v[0:1], v[12:13], v[26:27]
	s_delay_alu instid0(VALU_DEP_4) | instskip(NEXT) | instid1(VALU_DEP_4)
	v_fma_f64 v[4:5], v[4:5], v[10:11], -v[6:7]
	v_fma_f64 v[6:7], v[0:1], v[14:15], -v[2:3]
	ds_load_b128 v[0:3], v58
	global_wb scope:SCOPE_SE
	s_wait_dscnt 0x0
	s_barrier_signal -1
	s_barrier_wait -1
	global_inv scope:SCOPE_SE
	v_add_f64_e32 v[24:25], v[0:1], v[8:9]
	v_add_f64_e32 v[10:11], v[8:9], v[12:13]
	v_add_f64_e64 v[44:45], v[8:9], -v[12:13]
	v_add_f64_e32 v[14:15], v[4:5], v[6:7]
	v_add_f64_e64 v[26:27], v[4:5], -v[6:7]
	v_add_f64_e32 v[4:5], v[2:3], v[4:5]
	v_fma_f64 v[10:11], v[10:11], -0.5, v[0:1]
	v_add_f64_e32 v[0:1], v[24:25], v[12:13]
	v_fma_f64 v[14:15], v[14:15], -0.5, v[2:3]
	s_delay_alu instid0(VALU_DEP_4) | instskip(NEXT) | instid1(VALU_DEP_4)
	v_add_f64_e32 v[2:3], v[4:5], v[6:7]
	v_fma_f64 v[4:5], v[26:27], s[4:5], v[10:11]
	s_wait_alu 0xfffe
	v_fma_f64 v[8:9], v[26:27], s[6:7], v[10:11]
	s_delay_alu instid0(VALU_DEP_4)
	v_fma_f64 v[6:7], v[44:45], s[6:7], v[14:15]
	v_fma_f64 v[10:11], v[44:45], s[4:5], v[14:15]
	ds_store_b128 v60, v[0:3]
	ds_store_b128 v60, v[4:7] offset:96
	ds_store_b128 v60, v[8:11] offset:192
	global_wb scope:SCOPE_SE
	s_wait_dscnt 0x0
	s_barrier_signal -1
	s_barrier_wait -1
	global_inv scope:SCOPE_SE
	ds_load_b128 v[0:3], v58 offset:2592
	ds_load_b128 v[4:7], v58 offset:5184
	s_wait_dscnt 0x1
	v_mul_f64_e32 v[8:9], v[22:23], v[2:3]
	s_wait_dscnt 0x0
	v_mul_f64_e32 v[10:11], v[18:19], v[6:7]
	v_mul_f64_e32 v[12:13], v[22:23], v[0:1]
	;; [unrolled: 1-line block ×3, first 2 shown]
	s_delay_alu instid0(VALU_DEP_4) | instskip(NEXT) | instid1(VALU_DEP_4)
	v_fma_f64 v[8:9], v[20:21], v[0:1], v[8:9]
	v_fma_f64 v[4:5], v[16:17], v[4:5], v[10:11]
	s_delay_alu instid0(VALU_DEP_4) | instskip(NEXT) | instid1(VALU_DEP_4)
	v_fma_f64 v[10:11], v[20:21], v[2:3], -v[12:13]
	v_fma_f64 v[6:7], v[16:17], v[6:7], -v[14:15]
	ds_load_b128 v[0:3], v58
	global_wb scope:SCOPE_SE
	s_wait_dscnt 0x0
	s_barrier_signal -1
	s_barrier_wait -1
	global_inv scope:SCOPE_SE
	v_add_f64_e32 v[16:17], v[0:1], v[8:9]
	v_add_f64_e32 v[12:13], v[8:9], v[4:5]
	v_add_f64_e64 v[20:21], v[8:9], -v[4:5]
	v_add_f64_e32 v[14:15], v[10:11], v[6:7]
	v_add_f64_e64 v[18:19], v[10:11], -v[6:7]
	v_add_f64_e32 v[10:11], v[2:3], v[10:11]
	v_fma_f64 v[12:13], v[12:13], -0.5, v[0:1]
	v_add_f64_e32 v[0:1], v[16:17], v[4:5]
	v_fma_f64 v[14:15], v[14:15], -0.5, v[2:3]
	s_delay_alu instid0(VALU_DEP_4) | instskip(NEXT) | instid1(VALU_DEP_4)
	v_add_f64_e32 v[2:3], v[10:11], v[6:7]
	v_fma_f64 v[4:5], v[18:19], s[4:5], v[12:13]
	v_fma_f64 v[8:9], v[18:19], s[6:7], v[12:13]
	s_delay_alu instid0(VALU_DEP_4)
	v_fma_f64 v[6:7], v[20:21], s[6:7], v[14:15]
	v_fma_f64 v[10:11], v[20:21], s[4:5], v[14:15]
	ds_store_b128 v61, v[0:3]
	ds_store_b128 v61, v[4:7] offset:288
	ds_store_b128 v61, v[8:11] offset:576
	global_wb scope:SCOPE_SE
	s_wait_dscnt 0x0
	s_barrier_signal -1
	s_barrier_wait -1
	global_inv scope:SCOPE_SE
	ds_load_b128 v[0:3], v58 offset:2592
	ds_load_b128 v[4:7], v58 offset:5184
	s_wait_dscnt 0x1
	v_mul_f64_e32 v[8:9], v[34:35], v[2:3]
	s_wait_dscnt 0x0
	v_mul_f64_e32 v[10:11], v[30:31], v[6:7]
	v_mul_f64_e32 v[12:13], v[34:35], v[0:1]
	;; [unrolled: 1-line block ×3, first 2 shown]
	s_delay_alu instid0(VALU_DEP_4) | instskip(NEXT) | instid1(VALU_DEP_4)
	v_fma_f64 v[8:9], v[32:33], v[0:1], v[8:9]
	v_fma_f64 v[4:5], v[28:29], v[4:5], v[10:11]
	s_delay_alu instid0(VALU_DEP_4) | instskip(NEXT) | instid1(VALU_DEP_4)
	v_fma_f64 v[10:11], v[32:33], v[2:3], -v[12:13]
	v_fma_f64 v[6:7], v[28:29], v[6:7], -v[14:15]
	ds_load_b128 v[0:3], v58
	global_wb scope:SCOPE_SE
	s_wait_dscnt 0x0
	s_barrier_signal -1
	s_barrier_wait -1
	global_inv scope:SCOPE_SE
	v_add_f64_e32 v[16:17], v[0:1], v[8:9]
	v_add_f64_e32 v[12:13], v[8:9], v[4:5]
	v_add_f64_e64 v[20:21], v[8:9], -v[4:5]
	v_add_f64_e32 v[14:15], v[10:11], v[6:7]
	v_add_f64_e64 v[18:19], v[10:11], -v[6:7]
	v_add_f64_e32 v[10:11], v[2:3], v[10:11]
	v_fma_f64 v[12:13], v[12:13], -0.5, v[0:1]
	v_add_f64_e32 v[0:1], v[16:17], v[4:5]
	v_fma_f64 v[14:15], v[14:15], -0.5, v[2:3]
	s_delay_alu instid0(VALU_DEP_4) | instskip(NEXT) | instid1(VALU_DEP_4)
	v_add_f64_e32 v[2:3], v[10:11], v[6:7]
	v_fma_f64 v[4:5], v[18:19], s[4:5], v[12:13]
	v_fma_f64 v[8:9], v[18:19], s[6:7], v[12:13]
	s_delay_alu instid0(VALU_DEP_4)
	v_fma_f64 v[6:7], v[20:21], s[6:7], v[14:15]
	v_fma_f64 v[10:11], v[20:21], s[4:5], v[14:15]
	ds_store_b128 v62, v[0:3]
	ds_store_b128 v62, v[4:7] offset:864
	ds_store_b128 v62, v[8:11] offset:1728
	global_wb scope:SCOPE_SE
	s_wait_dscnt 0x0
	s_barrier_signal -1
	s_barrier_wait -1
	global_inv scope:SCOPE_SE
	ds_load_b128 v[0:3], v58 offset:2592
	ds_load_b128 v[4:7], v58 offset:5184
	s_wait_dscnt 0x1
	v_mul_f64_e32 v[8:9], v[42:43], v[2:3]
	s_wait_dscnt 0x0
	v_mul_f64_e32 v[10:11], v[38:39], v[6:7]
	v_mul_f64_e32 v[12:13], v[42:43], v[0:1]
	;; [unrolled: 1-line block ×3, first 2 shown]
	s_delay_alu instid0(VALU_DEP_4) | instskip(NEXT) | instid1(VALU_DEP_4)
	v_fma_f64 v[8:9], v[40:41], v[0:1], v[8:9]
	v_fma_f64 v[4:5], v[36:37], v[4:5], v[10:11]
	s_delay_alu instid0(VALU_DEP_4) | instskip(NEXT) | instid1(VALU_DEP_4)
	v_fma_f64 v[10:11], v[40:41], v[2:3], -v[12:13]
	v_fma_f64 v[6:7], v[36:37], v[6:7], -v[14:15]
	ds_load_b128 v[0:3], v58
	s_wait_dscnt 0x0
	v_add_f64_e32 v[16:17], v[0:1], v[8:9]
	v_add_f64_e32 v[12:13], v[8:9], v[4:5]
	v_add_f64_e64 v[20:21], v[8:9], -v[4:5]
	v_add_f64_e32 v[14:15], v[10:11], v[6:7]
	v_add_f64_e64 v[18:19], v[10:11], -v[6:7]
	v_add_f64_e32 v[10:11], v[2:3], v[10:11]
	v_fma_f64 v[12:13], v[12:13], -0.5, v[0:1]
	v_add_f64_e32 v[0:1], v[16:17], v[4:5]
	v_fma_f64 v[14:15], v[14:15], -0.5, v[2:3]
	s_delay_alu instid0(VALU_DEP_4) | instskip(NEXT) | instid1(VALU_DEP_4)
	v_add_f64_e32 v[2:3], v[10:11], v[6:7]
	v_fma_f64 v[4:5], v[18:19], s[4:5], v[12:13]
	v_fma_f64 v[8:9], v[18:19], s[6:7], v[12:13]
	s_delay_alu instid0(VALU_DEP_4)
	v_fma_f64 v[6:7], v[20:21], s[6:7], v[14:15]
	v_fma_f64 v[10:11], v[20:21], s[4:5], v[14:15]
	ds_store_b128 v58, v[0:3]
	ds_store_b128 v58, v[4:7] offset:2592
	ds_store_b128 v58, v[8:11] offset:5184
	global_wb scope:SCOPE_SE
	s_wait_dscnt 0x0
	s_barrier_signal -1
	s_barrier_wait -1
	global_inv scope:SCOPE_SE
	s_and_b32 exec_lo, exec_lo, vcc_lo
	s_cbranch_execz .LBB0_15
; %bb.14:
	s_clause 0x5
	global_load_b128 v[0:3], v58, s[12:13]
	global_load_b128 v[4:7], v58, s[12:13] offset:1296
	global_load_b128 v[8:11], v58, s[12:13] offset:2592
	;; [unrolled: 1-line block ×5, first 2 shown]
	ds_load_b128 v[24:27], v58
	ds_load_b128 v[28:31], v58 offset:1296
	ds_load_b128 v[32:35], v58 offset:2592
	ds_load_b128 v[36:39], v58 offset:3888
	ds_load_b128 v[40:43], v58 offset:5184
	ds_load_b128 v[44:47], v58 offset:6480
	v_mad_co_u64_u32 v[62:63], null, s2, v56, 0
	s_wait_loadcnt_dscnt 0x505
	v_mul_f64_e32 v[48:49], v[26:27], v[2:3]
	v_mul_f64_e32 v[2:3], v[24:25], v[2:3]
	s_wait_loadcnt_dscnt 0x404
	v_mul_f64_e32 v[50:51], v[30:31], v[6:7]
	v_mul_f64_e32 v[6:7], v[28:29], v[6:7]
	;; [unrolled: 3-line block ×6, first 2 shown]
	v_fma_f64 v[24:25], v[24:25], v[0:1], v[48:49]
	v_fma_f64 v[2:3], v[0:1], v[26:27], -v[2:3]
	v_fma_f64 v[26:27], v[28:29], v[4:5], v[50:51]
	v_fma_f64 v[6:7], v[4:5], v[30:31], -v[6:7]
	;; [unrolled: 2-line block ×6, first 2 shown]
	v_mad_co_u64_u32 v[0:1], null, s0, v57, 0
	s_delay_alu instid0(VALU_DEP_1) | instskip(SKIP_2) | instid1(VALU_DEP_2)
	v_mad_co_u64_u32 v[8:9], null, s1, v57, v[1:2]
	v_mov_b32_e32 v4, v63
	s_mul_u64 s[0:1], s[0:1], 0x510
	v_mov_b32_e32 v1, v8
	s_delay_alu instid0(VALU_DEP_2) | instskip(SKIP_2) | instid1(VALU_DEP_2)
	v_mad_co_u64_u32 v[4:5], null, s3, v56, v[4:5]
	s_mov_b32 s2, 0xa88f4696
	s_mov_b32 s3, 0x3f60db20
	v_lshlrev_b64_e32 v[38:39], 4, v[0:1]
	s_wait_alu 0xfffe
	v_mul_f64_e32 v[0:1], s[2:3], v[24:25]
	v_mul_f64_e32 v[2:3], s[2:3], v[2:3]
	;; [unrolled: 1-line block ×3, first 2 shown]
	v_mov_b32_e32 v63, v4
	v_mul_f64_e32 v[4:5], s[2:3], v[26:27]
	v_mul_f64_e32 v[8:9], s[2:3], v[28:29]
	;; [unrolled: 1-line block ×4, first 2 shown]
	v_lshlrev_b64_e32 v[36:37], 4, v[62:63]
	v_mul_f64_e32 v[14:15], s[2:3], v[14:15]
	v_mul_f64_e32 v[16:17], s[2:3], v[32:33]
	;; [unrolled: 1-line block ×5, first 2 shown]
	v_add_co_u32 v24, vcc_lo, s8, v36
	v_add_co_ci_u32_e32 v25, vcc_lo, s9, v37, vcc_lo
	s_delay_alu instid0(VALU_DEP_2) | instskip(SKIP_1) | instid1(VALU_DEP_2)
	v_add_co_u32 v24, vcc_lo, v24, v38
	s_wait_alu 0xfffd
	v_add_co_ci_u32_e32 v25, vcc_lo, v25, v39, vcc_lo
	s_delay_alu instid0(VALU_DEP_2) | instskip(SKIP_1) | instid1(VALU_DEP_2)
	v_add_co_u32 v26, vcc_lo, v24, s0
	s_wait_alu 0xfffd
	;; [unrolled: 4-line block ×6, first 2 shown]
	v_add_co_ci_u32_e32 v35, vcc_lo, s1, v33, vcc_lo
	s_clause 0x4
	global_store_b128 v[24:25], v[0:3], off
	global_store_b128 v[26:27], v[4:7], off
	;; [unrolled: 1-line block ×6, first 2 shown]
.LBB0_15:
	s_nop 0
	s_sendmsg sendmsg(MSG_DEALLOC_VGPRS)
	s_endpgm
	.section	.rodata,"a",@progbits
	.p2align	6, 0x0
	.amdhsa_kernel bluestein_single_fwd_len486_dim1_dp_op_CI_CI
		.amdhsa_group_segment_fixed_size 7776
		.amdhsa_private_segment_fixed_size 0
		.amdhsa_kernarg_size 104
		.amdhsa_user_sgpr_count 2
		.amdhsa_user_sgpr_dispatch_ptr 0
		.amdhsa_user_sgpr_queue_ptr 0
		.amdhsa_user_sgpr_kernarg_segment_ptr 1
		.amdhsa_user_sgpr_dispatch_id 0
		.amdhsa_user_sgpr_private_segment_size 0
		.amdhsa_wavefront_size32 1
		.amdhsa_uses_dynamic_stack 0
		.amdhsa_enable_private_segment 0
		.amdhsa_system_sgpr_workgroup_id_x 1
		.amdhsa_system_sgpr_workgroup_id_y 0
		.amdhsa_system_sgpr_workgroup_id_z 0
		.amdhsa_system_sgpr_workgroup_info 0
		.amdhsa_system_vgpr_workitem_id 0
		.amdhsa_next_free_vgpr 125
		.amdhsa_next_free_sgpr 14
		.amdhsa_reserve_vcc 1
		.amdhsa_float_round_mode_32 0
		.amdhsa_float_round_mode_16_64 0
		.amdhsa_float_denorm_mode_32 3
		.amdhsa_float_denorm_mode_16_64 3
		.amdhsa_fp16_overflow 0
		.amdhsa_workgroup_processor_mode 1
		.amdhsa_memory_ordered 1
		.amdhsa_forward_progress 0
		.amdhsa_round_robin_scheduling 0
		.amdhsa_exception_fp_ieee_invalid_op 0
		.amdhsa_exception_fp_denorm_src 0
		.amdhsa_exception_fp_ieee_div_zero 0
		.amdhsa_exception_fp_ieee_overflow 0
		.amdhsa_exception_fp_ieee_underflow 0
		.amdhsa_exception_fp_ieee_inexact 0
		.amdhsa_exception_int_div_zero 0
	.end_amdhsa_kernel
	.text
.Lfunc_end0:
	.size	bluestein_single_fwd_len486_dim1_dp_op_CI_CI, .Lfunc_end0-bluestein_single_fwd_len486_dim1_dp_op_CI_CI
                                        ; -- End function
	.section	.AMDGPU.csdata,"",@progbits
; Kernel info:
; codeLenInByte = 5564
; NumSgprs: 16
; NumVgprs: 125
; ScratchSize: 0
; MemoryBound: 0
; FloatMode: 240
; IeeeMode: 1
; LDSByteSize: 7776 bytes/workgroup (compile time only)
; SGPRBlocks: 1
; VGPRBlocks: 15
; NumSGPRsForWavesPerEU: 16
; NumVGPRsForWavesPerEU: 125
; Occupancy: 10
; WaveLimiterHint : 1
; COMPUTE_PGM_RSRC2:SCRATCH_EN: 0
; COMPUTE_PGM_RSRC2:USER_SGPR: 2
; COMPUTE_PGM_RSRC2:TRAP_HANDLER: 0
; COMPUTE_PGM_RSRC2:TGID_X_EN: 1
; COMPUTE_PGM_RSRC2:TGID_Y_EN: 0
; COMPUTE_PGM_RSRC2:TGID_Z_EN: 0
; COMPUTE_PGM_RSRC2:TIDIG_COMP_CNT: 0
	.text
	.p2alignl 7, 3214868480
	.fill 96, 4, 3214868480
	.type	__hip_cuid_b9371902ce33d0b9,@object ; @__hip_cuid_b9371902ce33d0b9
	.section	.bss,"aw",@nobits
	.globl	__hip_cuid_b9371902ce33d0b9
__hip_cuid_b9371902ce33d0b9:
	.byte	0                               ; 0x0
	.size	__hip_cuid_b9371902ce33d0b9, 1

	.ident	"AMD clang version 19.0.0git (https://github.com/RadeonOpenCompute/llvm-project roc-6.4.0 25133 c7fe45cf4b819c5991fe208aaa96edf142730f1d)"
	.section	".note.GNU-stack","",@progbits
	.addrsig
	.addrsig_sym __hip_cuid_b9371902ce33d0b9
	.amdgpu_metadata
---
amdhsa.kernels:
  - .args:
      - .actual_access:  read_only
        .address_space:  global
        .offset:         0
        .size:           8
        .value_kind:     global_buffer
      - .actual_access:  read_only
        .address_space:  global
        .offset:         8
        .size:           8
        .value_kind:     global_buffer
      - .actual_access:  read_only
        .address_space:  global
        .offset:         16
        .size:           8
        .value_kind:     global_buffer
      - .actual_access:  read_only
        .address_space:  global
        .offset:         24
        .size:           8
        .value_kind:     global_buffer
      - .actual_access:  read_only
        .address_space:  global
        .offset:         32
        .size:           8
        .value_kind:     global_buffer
      - .offset:         40
        .size:           8
        .value_kind:     by_value
      - .address_space:  global
        .offset:         48
        .size:           8
        .value_kind:     global_buffer
      - .address_space:  global
        .offset:         56
        .size:           8
        .value_kind:     global_buffer
      - .address_space:  global
        .offset:         64
        .size:           8
        .value_kind:     global_buffer
      - .address_space:  global
        .offset:         72
        .size:           8
        .value_kind:     global_buffer
      - .offset:         80
        .size:           4
        .value_kind:     by_value
      - .address_space:  global
        .offset:         88
        .size:           8
        .value_kind:     global_buffer
      - .address_space:  global
        .offset:         96
        .size:           8
        .value_kind:     global_buffer
    .group_segment_fixed_size: 7776
    .kernarg_segment_align: 8
    .kernarg_segment_size: 104
    .language:       OpenCL C
    .language_version:
      - 2
      - 0
    .max_flat_workgroup_size: 162
    .name:           bluestein_single_fwd_len486_dim1_dp_op_CI_CI
    .private_segment_fixed_size: 0
    .sgpr_count:     16
    .sgpr_spill_count: 0
    .symbol:         bluestein_single_fwd_len486_dim1_dp_op_CI_CI.kd
    .uniform_work_group_size: 1
    .uses_dynamic_stack: false
    .vgpr_count:     125
    .vgpr_spill_count: 0
    .wavefront_size: 32
    .workgroup_processor_mode: 1
amdhsa.target:   amdgcn-amd-amdhsa--gfx1201
amdhsa.version:
  - 1
  - 2
...

	.end_amdgpu_metadata
